;; amdgpu-corpus repo=zjin-lcf/HeCBench kind=compiled arch=gfx1030 opt=O3
	.amdgcn_target "amdgcn-amd-amdhsa--gfx1030"
	.amdhsa_code_object_version 6
	.text
	.protected	_Z3spmPKfiPKhS2_15HIP_vector_typeIiLj3EES4_PhS5_Pb ; -- Begin function _Z3spmPKfiPKhS2_15HIP_vector_typeIiLj3EES4_PhS5_Pb
	.globl	_Z3spmPKfiPKhS2_15HIP_vector_typeIiLj3EES4_PhS5_Pb
	.p2align	8
	.type	_Z3spmPKfiPKhS2_15HIP_vector_typeIiLj3EES4_PhS5_Pb,@function
_Z3spmPKfiPKhS2_15HIP_vector_typeIiLj3EES4_PhS5_Pb: ; @_Z3spmPKfiPKhS2_15HIP_vector_typeIiLj3EES4_PhS5_Pb
; %bb.0:
	s_load_dword s24, s[4:5], 0x8
	v_lshl_add_u32 v0, s6, 7, v0
	s_mov_b32 s0, exec_lo
	s_waitcnt lgkmcnt(0)
	v_cmpx_gt_i32_e64 s24, v0
	s_cbranch_execz .LBB0_11
; %bb.1:
	s_clause 0x6
	s_load_dwordx2 s[2:3], s[4:5], 0x20
	s_load_dwordx2 s[12:13], s[4:5], 0x2c
	s_load_dword s31, s[4:5], 0x34
	s_load_dwordx2 s[0:1], s[4:5], 0x0
	s_load_dwordx2 s[14:15], s[4:5], 0x48
	s_load_dwordx4 s[8:11], s[4:5], 0x38
	s_load_dwordx4 s[4:7], s[4:5], 0x10
	s_mov_b32 s40, 0
	s_waitcnt lgkmcnt(0)
	s_clause 0x3
	s_load_dwordx2 s[16:17], s[0:1], 0x0
	s_load_dword s27, s[0:1], 0x8
	s_load_dwordx2 s[18:19], s[0:1], 0x10
	s_load_dword s28, s[0:1], 0x18
	s_add_i32 s37, s2, -2
	s_add_i32 s38, s3, -2
	s_abs_i32 s25, s37
	s_abs_i32 s26, s38
	v_cvt_f32_u32_e32 v1, s25
	v_cvt_f32_u32_e32 v2, s26
	s_sub_i32 s20, 0, s25
	s_sub_i32 s21, 0, s26
	v_cvt_f32_i32_e32 v4, s31
	v_rcp_iflag_f32_e32 v1, v1
	v_rcp_iflag_f32_e32 v2, v2
	v_cvt_f32_i32_e32 v5, s13
	v_cvt_f32_i32_e32 v6, s12
	v_cvt_f32_i32_e32 v8, s38
	s_mul_i32 s34, s13, s12
	s_mul_i32 s36, s3, s2
	s_ashr_i32 s31, s12, 31
	s_mov_b32 s33, s12
	s_ashr_i32 s35, s2, 31
	v_mul_f32_e32 v1, 0x4f7ffffe, v1
	v_mul_f32_e32 v2, 0x4f7ffffe, v2
	s_mov_b32 s38, s2
	s_ashr_i32 s39, s36, 31
	v_cvt_u32_f32_e32 v1, v1
	v_cvt_u32_f32_e32 v2, v2
	v_mul_lo_u32 v3, s20, v1
	v_mul_lo_u32 v7, s21, v2
	s_clause 0x3
	s_load_dwordx2 s[20:21], s[0:1], 0x20
	s_load_dword s29, s[0:1], 0x28
	s_load_dwordx2 s[22:23], s[0:1], 0x30
	s_load_dword s30, s[0:1], 0x38
	v_mul_hi_u32 v3, v1, v3
	v_mul_hi_u32 v10, v2, v7
	v_cvt_f32_i32_e32 v7, s37
	s_ashr_i32 s37, s34, 31
	v_add_nc_u32_e32 v9, v1, v3
	v_add_nc_u32_e32 v10, v2, v10
	v_ashrrev_i32_e32 v1, 31, v0
	s_branch .LBB0_3
.LBB0_2:                                ;   in Loop: Header=BB0_3 Depth=1
	s_or_b32 exec_lo, exec_lo, s0
	v_add_co_u32 v0, vcc_lo, 0x8000, v0
	v_add_co_u32 v12, s0, s10, v2
	v_add_co_ci_u32_e64 v1, null, 0, v1, vcc_lo
	v_cmp_le_i32_e32 vcc_lo, s24, v0
	v_add_co_ci_u32_e64 v13, null, s11, v3, s0
	v_add_co_u32 v2, s0, s14, v2
	v_add_co_ci_u32_e64 v3, null, s15, v3, s0
	s_or_b32 s40, vcc_lo, s40
	global_store_byte v[12:13], v16, off
	global_store_byte v[2:3], v11, off
	s_andn2_b32 exec_lo, exec_lo, s40
	s_cbranch_execz .LBB0_11
.LBB0_3:                                ; =>This Inner Loop Header: Depth=1
	v_mul_hi_i32 v2, 0x151d07eb, v0
	s_getpc_b64 s[0:1]
	s_add_u32 s0, s0, __const._Z3spmPKfiPKhS2_15HIP_vector_typeIiLj3EES4_PhS5_Pb.ran@rel32@lo+4
	s_addc_u32 s1, s1, __const._Z3spmPKfiPKhS2_15HIP_vector_typeIiLj3EES4_PhS5_Pb.ran@rel32@hi+12
	s_mov_b32 s42, exec_lo
	v_lshrrev_b32_e32 v3, 31, v2
	v_ashrrev_i32_e32 v2, 3, v2
	v_add_nc_u32_e32 v2, v2, v3
	v_mul_lo_u32 v2, 0x61, v2
	v_sub_nc_u32_e32 v2, v0, v2
	v_ashrrev_i32_e32 v3, 31, v2
	v_lshlrev_b64 v[2:3], 2, v[2:3]
	v_add_co_u32 v2, vcc_lo, s0, v2
	v_add_co_ci_u32_e64 v3, null, s1, v3, vcc_lo
	global_load_dword v12, v[2:3], off
	v_cvt_f32_i32_e32 v2, v0
	v_div_scale_f32 v3, null, v7, v7, v2
	v_div_scale_f32 v14, vcc_lo, v2, v7, v2
	v_rcp_f32_e32 v11, v3
	v_fma_f32 v13, -v3, v11, 1.0
	v_fmac_f32_e32 v11, v13, v11
	v_mul_f32_e32 v13, v14, v11
	v_fma_f32 v15, -v3, v13, v14
	v_fmac_f32_e32 v13, v15, v11
	v_fma_f32 v3, -v3, v13, v14
	v_div_fmas_f32 v3, v3, v11, v13
	v_sub_nc_u32_e32 v11, 0, v0
	v_div_fixup_f32 v2, v3, v7, v2
	v_max_i32_e32 v11, v0, v11
	v_floor_f32_e32 v2, v2
	v_mul_hi_u32 v14, v11, v9
	v_cvt_i32_f32_e32 v3, v2
	v_div_scale_f32 v16, null, v8, v8, v2
	v_mul_lo_u32 v14, v14, s25
	v_sub_nc_u32_e32 v13, 0, v3
	v_ashrrev_i32_e32 v20, 31, v3
	v_max_i32_e32 v13, v3, v13
	v_ashrrev_i32_e32 v3, 31, v0
	v_sub_nc_u32_e32 v11, v11, v14
	v_rcp_f32_e32 v14, v16
	v_mul_hi_u32 v15, v13, v10
	v_cmp_le_u32_e32 vcc_lo, s25, v11
	v_mul_lo_u32 v15, v15, s26
	v_sub_nc_u32_e32 v13, v13, v15
	v_subrev_nc_u32_e32 v15, s25, v11
	v_subrev_nc_u32_e32 v17, s26, v13
	v_cndmask_b32_e32 v11, v11, v15, vcc_lo
	v_cmp_le_u32_e32 vcc_lo, s26, v13
	v_fma_f32 v15, -v16, v14, 1.0
	v_subrev_nc_u32_e32 v18, s25, v11
	v_cndmask_b32_e32 v13, v13, v17, vcc_lo
	v_div_scale_f32 v17, vcc_lo, v2, v8, v2
	v_fmac_f32_e32 v14, v15, v14
	v_subrev_nc_u32_e32 v15, s26, v13
	v_cmp_le_u32_e64 s0, s26, v13
	v_mul_f32_e32 v19, v17, v14
	v_cndmask_b32_e64 v13, v13, v15, s0
	v_cmp_le_u32_e64 s0, s25, v11
	v_fma_f32 v15, -v16, v19, v17
	v_xor_b32_e32 v13, v13, v20
	v_cndmask_b32_e64 v11, v11, v18, s0
	v_fmac_f32_e32 v19, v15, v14
	v_sub_nc_u32_e32 v13, v13, v20
	v_xor_b32_e32 v11, v11, v3
	v_fma_f32 v15, -v16, v19, v17
                                        ; implicit-def: $vgpr16
	v_cvt_f32_i32_e32 v13, v13
	v_sub_nc_u32_e32 v11, v11, v3
	v_div_fmas_f32 v14, v15, v14, v19
	v_add_f32_e32 v13, 1.0, v13
	v_cvt_f32_i32_e32 v11, v11
	v_div_fixup_f32 v2, v14, v8, v2
	v_add_f32_e32 v14, 1.0, v11
	s_waitcnt vmcnt(0)
	v_add_f32_e32 v11, v12, v13
	v_add_f32_e32 v13, 1.0, v2
	v_add_f32_e32 v2, v14, v12
	s_waitcnt lgkmcnt(0)
	v_mul_f32_e32 v14, s28, v11
	v_add_f32_e32 v12, v13, v12
	v_fmac_f32_e32 v14, s27, v2
	v_fmac_f32_e32 v14, s29, v12
	v_add_f32_e32 v13, s30, v14
	v_cmp_nle_f32_e64 s41, 1.0, v13
	v_cmpx_le_f32_e32 1.0, v13
	s_cbranch_execz .LBB0_9
; %bb.4:                                ;   in Loop: Header=BB0_3 Depth=1
	v_mul_f32_e32 v14, s19, v11
	v_cmp_lt_f32_e32 vcc_lo, v13, v4
                                        ; implicit-def: $vgpr16
	v_fmac_f32_e32 v14, s17, v2
	v_fmac_f32_e32 v14, s21, v12
	v_add_f32_e32 v14, s23, v14
	v_cmp_le_f32_e64 s0, 1.0, v14
	s_and_b32 s0, vcc_lo, s0
	s_xor_b32 s43, s0, -1
	s_and_saveexec_b32 s44, s0
	s_cbranch_execz .LBB0_8
; %bb.5:                                ;   in Loop: Header=BB0_3 Depth=1
	v_mul_f32_e32 v15, s18, v11
	v_cmp_lt_f32_e32 vcc_lo, v14, v5
                                        ; implicit-def: $vgpr16
	v_fmac_f32_e32 v15, s16, v2
	v_fmac_f32_e32 v15, s20, v12
	v_add_f32_e32 v15, s22, v15
	v_cmp_lt_f32_e64 s0, v15, v6
	v_cmp_le_f32_e64 s1, 1.0, v15
	s_and_b32 s0, vcc_lo, s0
	s_and_b32 s45, s0, s1
	s_mov_b32 s1, -1
	s_and_saveexec_b32 s0, s45
	s_cbranch_execz .LBB0_7
; %bb.6:                                ;   in Loop: Header=BB0_3 Depth=1
	v_floor_f32_e32 v16, v13
	v_floor_f32_e32 v18, v15
	;; [unrolled: 1-line block ×3, first 2 shown]
	s_xor_b32 s1, exec_lo, -1
	v_cvt_i32_f32_e32 v26, v16
	v_floor_f32_e32 v16, v12
	v_cvt_i32_f32_e32 v29, v18
	v_cvt_i32_f32_e32 v31, v20
	v_add_nc_u32_e32 v17, -1, v26
	v_cvt_i32_f32_e32 v27, v16
	v_floor_f32_e32 v16, v14
	v_add_co_u32 v20, vcc_lo, s6, v29
	v_mul_lo_u32 v17, v17, s13
	v_add_nc_u32_e32 v19, -1, v27
	v_cvt_i32_f32_e32 v28, v16
	v_floor_f32_e32 v16, v2
	v_cvt_f32_i32_e32 v27, v27
	v_mul_lo_u32 v18, v19, s3
	v_cvt_i32_f32_e32 v30, v16
	v_add3_u32 v17, v28, v17, -1
	v_ashrrev_i32_e32 v16, 31, v29
	v_sub_f32_e32 v12, v12, v27
	v_ashrrev_i32_e32 v19, 31, v30
	v_mul_lo_u32 v17, v17, s12
	v_add3_u32 v18, v31, v18, -1
	v_add_co_ci_u32_e64 v21, null, s7, v16, vcc_lo
	v_add_co_u32 v23, vcc_lo, s4, v30
	v_mul_lo_u32 v22, v18, s2
	v_add_co_ci_u32_e64 v24, null, s5, v19, vcc_lo
	v_ashrrev_i32_e32 v18, 31, v17
	v_add_co_u32 v16, vcc_lo, v20, v17
	v_add_co_ci_u32_e64 v17, null, v21, v18, vcc_lo
	v_add_co_u32 v18, vcc_lo, v16, s33
	v_ashrrev_i32_e32 v25, 31, v22
	v_add_co_ci_u32_e64 v19, null, s31, v17, vcc_lo
	v_add_co_u32 v20, vcc_lo, v16, s34
	v_add_co_ci_u32_e64 v21, null, s37, v17, vcc_lo
	v_add_co_u32 v22, vcc_lo, v23, v22
	v_add_co_ci_u32_e64 v23, null, v24, v25, vcc_lo
	global_load_ushort v32, v[16:17], off offset:-1
	v_add_co_u32 v16, vcc_lo, v22, s38
	v_add_co_ci_u32_e64 v17, null, s35, v23, vcc_lo
	v_add_co_u32 v24, vcc_lo, v20, s33
	v_add_co_ci_u32_e64 v25, null, s31, v21, vcc_lo
	s_clause 0x1
	global_load_ushort v33, v[18:19], off offset:-1
	global_load_ushort v20, v[20:21], off offset:-1
	;; [unrolled: 1-line block ×3, first 2 shown]
	v_add_co_u32 v16, vcc_lo, v22, s36
	v_add_co_ci_u32_e64 v17, null, s39, v23, vcc_lo
	global_load_ushort v24, v[24:25], off offset:-1
	v_add_co_u32 v18, vcc_lo, v16, s38
	v_add_co_ci_u32_e64 v19, null, s35, v17, vcc_lo
	s_clause 0x2
	global_load_ushort v16, v[16:17], off offset:-1
	global_load_ushort v17, v[22:23], off offset:-1
	;; [unrolled: 1-line block ×3, first 2 shown]
	v_cvt_f32_i32_e32 v19, v29
	v_cvt_f32_i32_e32 v23, v26
	;; [unrolled: 1-line block ×5, first 2 shown]
	v_sub_f32_e32 v15, v15, v19
	v_sub_f32_e32 v13, v13, v23
	;; [unrolled: 1-line block ×5, first 2 shown]
	v_sub_f32_e32 v23, 1.0, v15
	v_sub_f32_e32 v22, 1.0, v13
	;; [unrolled: 1-line block ×5, first 2 shown]
	s_waitcnt vmcnt(7)
	v_cvt_f32_ubyte1_e32 v26, v32
	v_cvt_f32_ubyte0_e32 v28, v32
	v_mul_f32_e32 v26, v15, v26
	s_waitcnt vmcnt(6)
	v_cvt_f32_ubyte1_e32 v30, v33
	s_waitcnt vmcnt(5)
	v_cvt_f32_ubyte0_e32 v31, v20
	v_cvt_f32_ubyte1_e32 v20, v20
	v_fmac_f32_e32 v26, v23, v28
	v_cvt_f32_ubyte0_e32 v29, v33
	v_mul_f32_e32 v28, v15, v30
	s_waitcnt vmcnt(4)
	v_cvt_f32_ubyte0_e32 v32, v21
	s_waitcnt vmcnt(3)
	v_cvt_f32_ubyte0_e32 v30, v24
	v_cvt_f32_ubyte1_e32 v24, v24
	v_cvt_f32_ubyte1_e32 v21, v21
	v_mul_f32_e32 v20, v15, v20
	s_waitcnt vmcnt(2)
	v_cvt_f32_ubyte0_e32 v34, v16
	s_waitcnt vmcnt(1)
	v_cvt_f32_ubyte0_e32 v33, v17
	s_waitcnt vmcnt(0)
	v_cvt_f32_ubyte1_e32 v35, v18
	v_cvt_f32_ubyte1_e32 v17, v17
	v_mul_f32_e32 v15, v15, v24
	v_cvt_f32_ubyte1_e32 v16, v16
	v_cvt_f32_ubyte0_e32 v18, v18
	v_mul_f32_e32 v24, v2, v35
	v_mul_f32_e32 v21, v2, v21
	v_fmac_f32_e32 v15, v23, v30
	v_mul_f32_e32 v17, v2, v17
	v_mul_f32_e32 v2, v2, v16
	v_fmac_f32_e32 v24, v27, v18
	v_fmac_f32_e32 v28, v23, v29
	;; [unrolled: 1-line block ×3, first 2 shown]
	v_mul_f32_e32 v15, v14, v15
	v_fmac_f32_e32 v21, v27, v32
	v_fmac_f32_e32 v2, v27, v34
	v_mul_f32_e32 v16, v11, v24
	v_mul_f32_e32 v14, v14, v28
	v_fmac_f32_e32 v15, v19, v20
	v_fmac_f32_e32 v17, v27, v33
	v_mul_f32_e32 v11, v11, v21
	v_fmac_f32_e32 v16, v25, v2
	v_fmac_f32_e32 v14, v19, v26
	v_mul_f32_e32 v2, v13, v15
	v_sub_f32_e32 v13, 1.0, v12
	v_fmac_f32_e32 v11, v25, v17
	v_mul_f32_e32 v12, v12, v16
	v_fmac_f32_e32 v2, v22, v14
	v_fmac_f32_e32 v12, v13, v11
	v_add_f32_e32 v2, 0.5, v2
	v_add_f32_e32 v11, 0.5, v12
	v_floor_f32_e32 v12, v2
	v_mov_b32_e32 v2, v0
	v_floor_f32_e32 v13, v11
	v_add_co_u32 v11, vcc_lo, s8, v0
	v_cvt_i32_f32_e32 v14, v12
	v_add_co_ci_u32_e64 v12, null, s9, v1, vcc_lo
	v_cvt_i32_f32_e32 v16, v13
	global_store_byte v[11:12], v14, off
.LBB0_7:                                ;   in Loop: Header=BB0_3 Depth=1
	s_or_b32 exec_lo, exec_lo, s0
	s_andn2_b32 s0, s43, exec_lo
	s_and_b32 s1, s1, exec_lo
	s_or_b32 s43, s0, s1
.LBB0_8:                                ;   in Loop: Header=BB0_3 Depth=1
	s_or_b32 exec_lo, exec_lo, s44
	s_andn2_b32 s0, s41, exec_lo
	s_and_b32 s1, s43, exec_lo
	s_or_b32 s41, s0, s1
.LBB0_9:                                ;   in Loop: Header=BB0_3 Depth=1
	s_or_b32 exec_lo, exec_lo, s42
	v_mov_b32_e32 v11, 1
	s_and_saveexec_b32 s0, s41
	s_cbranch_execz .LBB0_2
; %bb.10:                               ;   in Loop: Header=BB0_3 Depth=1
	v_add_co_u32 v12, vcc_lo, s8, v0
	v_mov_b32_e32 v3, v1
	v_add_co_ci_u32_e64 v13, null, s9, v1, vcc_lo
	v_mov_b32_e32 v16, 0
	v_mov_b32_e32 v2, v0
	;; [unrolled: 1-line block ×3, first 2 shown]
	global_store_byte v[12:13], v16, off
	s_branch .LBB0_2
.LBB0_11:
	s_endpgm
	.section	.rodata,"a",@progbits
	.p2align	6, 0x0
	.amdhsa_kernel _Z3spmPKfiPKhS2_15HIP_vector_typeIiLj3EES4_PhS5_Pb
		.amdhsa_group_segment_fixed_size 0
		.amdhsa_private_segment_fixed_size 0
		.amdhsa_kernarg_size 80
		.amdhsa_user_sgpr_count 6
		.amdhsa_user_sgpr_private_segment_buffer 1
		.amdhsa_user_sgpr_dispatch_ptr 0
		.amdhsa_user_sgpr_queue_ptr 0
		.amdhsa_user_sgpr_kernarg_segment_ptr 1
		.amdhsa_user_sgpr_dispatch_id 0
		.amdhsa_user_sgpr_flat_scratch_init 0
		.amdhsa_user_sgpr_private_segment_size 0
		.amdhsa_wavefront_size32 1
		.amdhsa_uses_dynamic_stack 0
		.amdhsa_system_sgpr_private_segment_wavefront_offset 0
		.amdhsa_system_sgpr_workgroup_id_x 1
		.amdhsa_system_sgpr_workgroup_id_y 0
		.amdhsa_system_sgpr_workgroup_id_z 0
		.amdhsa_system_sgpr_workgroup_info 0
		.amdhsa_system_vgpr_workitem_id 0
		.amdhsa_next_free_vgpr 36
		.amdhsa_next_free_sgpr 46
		.amdhsa_reserve_vcc 1
		.amdhsa_reserve_flat_scratch 0
		.amdhsa_float_round_mode_32 0
		.amdhsa_float_round_mode_16_64 0
		.amdhsa_float_denorm_mode_32 3
		.amdhsa_float_denorm_mode_16_64 3
		.amdhsa_dx10_clamp 1
		.amdhsa_ieee_mode 1
		.amdhsa_fp16_overflow 0
		.amdhsa_workgroup_processor_mode 1
		.amdhsa_memory_ordered 1
		.amdhsa_forward_progress 1
		.amdhsa_shared_vgpr_count 0
		.amdhsa_exception_fp_ieee_invalid_op 0
		.amdhsa_exception_fp_denorm_src 0
		.amdhsa_exception_fp_ieee_div_zero 0
		.amdhsa_exception_fp_ieee_overflow 0
		.amdhsa_exception_fp_ieee_underflow 0
		.amdhsa_exception_fp_ieee_inexact 0
		.amdhsa_exception_int_div_zero 0
	.end_amdhsa_kernel
	.text
.Lfunc_end0:
	.size	_Z3spmPKfiPKhS2_15HIP_vector_typeIiLj3EES4_PhS5_Pb, .Lfunc_end0-_Z3spmPKfiPKhS2_15HIP_vector_typeIiLj3EES4_PhS5_Pb
                                        ; -- End function
	.set _Z3spmPKfiPKhS2_15HIP_vector_typeIiLj3EES4_PhS5_Pb.num_vgpr, 36
	.set _Z3spmPKfiPKhS2_15HIP_vector_typeIiLj3EES4_PhS5_Pb.num_agpr, 0
	.set _Z3spmPKfiPKhS2_15HIP_vector_typeIiLj3EES4_PhS5_Pb.numbered_sgpr, 46
	.set _Z3spmPKfiPKhS2_15HIP_vector_typeIiLj3EES4_PhS5_Pb.num_named_barrier, 0
	.set _Z3spmPKfiPKhS2_15HIP_vector_typeIiLj3EES4_PhS5_Pb.private_seg_size, 0
	.set _Z3spmPKfiPKhS2_15HIP_vector_typeIiLj3EES4_PhS5_Pb.uses_vcc, 1
	.set _Z3spmPKfiPKhS2_15HIP_vector_typeIiLj3EES4_PhS5_Pb.uses_flat_scratch, 0
	.set _Z3spmPKfiPKhS2_15HIP_vector_typeIiLj3EES4_PhS5_Pb.has_dyn_sized_stack, 0
	.set _Z3spmPKfiPKhS2_15HIP_vector_typeIiLj3EES4_PhS5_Pb.has_recursion, 0
	.set _Z3spmPKfiPKhS2_15HIP_vector_typeIiLj3EES4_PhS5_Pb.has_indirect_call, 0
	.section	.AMDGPU.csdata,"",@progbits
; Kernel info:
; codeLenInByte = 1784
; TotalNumSgprs: 48
; NumVgprs: 36
; ScratchSize: 0
; MemoryBound: 0
; FloatMode: 240
; IeeeMode: 1
; LDSByteSize: 0 bytes/workgroup (compile time only)
; SGPRBlocks: 0
; VGPRBlocks: 4
; NumSGPRsForWavesPerEU: 48
; NumVGPRsForWavesPerEU: 36
; Occupancy: 16
; WaveLimiterHint : 0
; COMPUTE_PGM_RSRC2:SCRATCH_EN: 0
; COMPUTE_PGM_RSRC2:USER_SGPR: 6
; COMPUTE_PGM_RSRC2:TRAP_HANDLER: 0
; COMPUTE_PGM_RSRC2:TGID_X_EN: 1
; COMPUTE_PGM_RSRC2:TGID_Y_EN: 0
; COMPUTE_PGM_RSRC2:TGID_Z_EN: 0
; COMPUTE_PGM_RSRC2:TIDIG_COMP_CNT: 0
	.text
	.p2alignl 6, 3214868480
	.fill 48, 4, 3214868480
	.section	.AMDGPU.gpr_maximums,"",@progbits
	.set amdgpu.max_num_vgpr, 0
	.set amdgpu.max_num_agpr, 0
	.set amdgpu.max_num_sgpr, 0
	.text
	.type	__const._Z3spmPKfiPKhS2_15HIP_vector_typeIiLj3EES4_PhS5_Pb.ran,@object ; @__const._Z3spmPKfiPKhS2_15HIP_vector_typeIiLj3EES4_PhS5_Pb.ran
	.section	.rodata,"a",@progbits
	.p2align	4, 0x0
__const._Z3spmPKfiPKhS2_15HIP_vector_typeIiLj3EES4_PhS5_Pb.ran:
	.long	0x3f28182f                      ; float 0.656619012
	.long	0x3f642492                      ; float 0.891183018
	.long	0x3ef9ee03                      ; float 0.48814401
	.long	0x3f7e1e0c                      ; float 0.992645978
	.long	0x3ebf2496                      ; float 0.373326004
	.long	0x3f080863                      ; float 0.531377971
	.long	0x3e39aae7                      ; float 0.181316003
	.long	0x3f007f67                      ; float 0.501944005
	.long	0x3ed829f1                      ; float 0.422194988
	.long	0x3f2911be                      ; float 0.660426974
	.long	0x3f2c7486                      ; float 0.673653007
	.long	0x3f751394                      ; float 0.957329988
	.long	0x3e447885                      ; float 0.191865996
	.long	0x3de3c537                      ; float 0.111216001
	.long	0x3f10a761                      ; float 0.565053999
	.long	0x3f781b43                      ; float 0.96916598
	.long	0x3cc28291                      ; float 0.0237438995
	.long	0x3f5ec67a                      ; float 0.870216012
	.long	0x3cdc2c51                      ; float 0.0268766005
	.long	0x3f04ffda                      ; float 0.519528985
	.long	0x3e44e7ef                      ; float 0.192291006
	.long	0x3f373765                      ; float 0.715689003
	.long	0x3e805836                      ; float 0.250672996
	.long	0x3f6f11c7                      ; float 0.93386501
	.long	0x3e0c7b46                      ; float 0.137189001
	.long	0x3f058905                      ; float 0.521622002
	.long	0x3f652bf5                      ; float 0.895201981
	.long	0x3f714046                      ; float 0.942386984
	.long	0x3eab9000                      ; float 0.335083008
	.long	0x3edfee2d                      ; float 0.437364012
	.long	0x3ef13b5c                      ; float 0.471156001
	.long	0x3e18e4b8                      ; float 0.149309993
	.long	0x3e0b1fef                      ; float 0.135864004
	.long	0x3f0851ca                      ; float 0.532498002
	.long	0x3f39cd4f                      ; float 0.72578901
	.long	0x3ecc22cd                      ; float 0.398703009
	.long	0x3eb782b2                      ; float 0.358419001
	.long	0x3e921017                      ; float 0.285279006
	.long	0x3f5e5edd                      ; float 0.868634998
	.long	0x3f205c9a                      ; float 0.626412988
	.long	0x3e76f5cb                      ; float 0.241172001
	.long	0x3f7a6395                      ; float 0.978082001
	.long	0x3f23f7e0                      ; float 0.640501022
	.long	0x3e6b5d89                      ; float 0.229848996
	.long	0x3f2e6bf8                      ; float 0.681334972
	.long	0x3f2a7360                      ; float 0.665822983
	.long	0x3e09f384                      ; float 0.134718001
	.long	0x3cb843de                      ; float 0.0224932991
	.long	0x3e863ef3                      ; float 0.262199014
	.long	0x3dee9f6b                      ; float 0.116515003
	.long	0x3d8df6b3                      ; float 0.0693181977
	.long	0x3f5a599f                      ; float 0.852930009
	.long	0x3e38a8b1                      ; float 0.180331007
	.long	0x3d04c95e                      ; float 0.0324186012
	.long	0x3f3be293                      ; float 0.733925998
	.long	0x3f09592e                      ; float 0.536517024
	.long	0x3e8d53ce                      ; float 0.276030004
	.long	0x3ebca687                      ; float 0.368458003
	.long	0x3c53210f                      ; float 0.0128862998
	.long	0x3f63a301                      ; float 0.889205992
	.long	0x3f5db38d                      ; float 0.866020977
	.long	0x3e822caa                      ; float 0.25424701
	.long	0x3f11c982                      ; float 0.569481015
	.long	0x3e23165d                      ; float 0.159264997
	.long	0x3f18283d                      ; float 0.594363987
	.long	0x3ea985f0                      ; float 0.331099987
	.long	0x3f289add                      ; float 0.658613026
	.long	0x3f5d171e                      ; float 0.86363399
	.long	0x3f114fbe                      ; float 0.567623019
	.long	0x3f7b00ce                      ; float 0.980481028
	.long	0x3f4ab580                      ; float 0.79183197
	.long	0x3e1c419a                      ; float 0.152594
	.long	0x3f554142                      ; float 0.833027005
	.long	0x3e4477bc                      ; float 0.191863
	.long	0x3f2394a7                      ; float 0.638987004
	.long	0x3f2b4396                      ; float 0.66900003
	.long	0x3f45a78f                      ; float 0.772087991
	.long	0x3ec27781                      ; float 0.379817992
	.long	0x3ee2176e                      ; float 0.441585004
	.long	0x3ef753a4                      ; float 0.483060002
	.long	0x3f1bacd6                      ; float 0.608106017
	.long	0x3e34384c                      ; float 0.175996006
	.long	0x3b04bf42                      ; float 0.00202556001
	.long	0x3f4a4c1f                      ; float 0.790224015
	.long	0x3f037be1                      ; float 0.513608992
	.long	0x3e5a58b4                      ; float 0.213229001
	.long	0x3dd3dd98                      ; float 0.10345
	.long	0x3e211cf3                      ; float 0.157336995
	.long	0x3ed0a5ce                      ; float 0.407514989
	.long	0x3ed0c587                      ; float 0.407757014
	.long	0x3d57d44d                      ; float 0.0526927002
	.long	0x3f711aca                      ; float 0.941815018
	.long	0x3e199243                      ; float 0.149972007
	.long	0x3ec4ccab                      ; float 0.384373993
	.long	0x3e9f4320                      ; float 0.311058998
	.long	0x3e2c942d                      ; float 0.168533996
	.long	0x3f658ab9                      ; float 0.896647989
	.size	__const._Z3spmPKfiPKhS2_15HIP_vector_typeIiLj3EES4_PhS5_Pb.ran, 388

	.type	__hip_cuid_22722022daed131e,@object ; @__hip_cuid_22722022daed131e
	.section	.bss,"aw",@nobits
	.globl	__hip_cuid_22722022daed131e
__hip_cuid_22722022daed131e:
	.byte	0                               ; 0x0
	.size	__hip_cuid_22722022daed131e, 1

	.ident	"AMD clang version 22.0.0git (https://github.com/RadeonOpenCompute/llvm-project roc-7.2.4 26084 f58b06dce1f9c15707c5f808fd002e18c2accf7e)"
	.section	".note.GNU-stack","",@progbits
	.addrsig
	.addrsig_sym __hip_cuid_22722022daed131e
	.amdgpu_metadata
---
amdhsa.kernels:
  - .args:
      - .actual_access:  read_only
        .address_space:  global
        .offset:         0
        .size:           8
        .value_kind:     global_buffer
      - .offset:         8
        .size:           4
        .value_kind:     by_value
      - .actual_access:  read_only
        .address_space:  global
        .offset:         16
        .size:           8
        .value_kind:     global_buffer
      - .actual_access:  read_only
        .address_space:  global
        .offset:         24
        .size:           8
        .value_kind:     global_buffer
      - .offset:         32
        .size:           12
        .value_kind:     by_value
      - .offset:         44
        .size:           12
        .value_kind:     by_value
      - .actual_access:  write_only
        .address_space:  global
        .offset:         56
        .size:           8
        .value_kind:     global_buffer
      - .actual_access:  write_only
        .address_space:  global
        .offset:         64
        .size:           8
        .value_kind:     global_buffer
      - .actual_access:  write_only
        .address_space:  global
        .offset:         72
        .size:           8
        .value_kind:     global_buffer
    .group_segment_fixed_size: 0
    .kernarg_segment_align: 8
    .kernarg_segment_size: 80
    .language:       OpenCL C
    .language_version:
      - 2
      - 0
    .max_flat_workgroup_size: 1024
    .name:           _Z3spmPKfiPKhS2_15HIP_vector_typeIiLj3EES4_PhS5_Pb
    .private_segment_fixed_size: 0
    .sgpr_count:     48
    .sgpr_spill_count: 0
    .symbol:         _Z3spmPKfiPKhS2_15HIP_vector_typeIiLj3EES4_PhS5_Pb.kd
    .uniform_work_group_size: 1
    .uses_dynamic_stack: false
    .vgpr_count:     36
    .vgpr_spill_count: 0
    .wavefront_size: 32
    .workgroup_processor_mode: 1
amdhsa.target:   amdgcn-amd-amdhsa--gfx1030
amdhsa.version:
  - 1
  - 2
...

	.end_amdgpu_metadata
